;; amdgpu-corpus repo=ROCm/rocFFT kind=compiled arch=gfx906 opt=O3
	.text
	.amdgcn_target "amdgcn-amd-amdhsa--gfx906"
	.amdhsa_code_object_version 6
	.protected	bluestein_single_back_len180_dim1_sp_op_CI_CI ; -- Begin function bluestein_single_back_len180_dim1_sp_op_CI_CI
	.globl	bluestein_single_back_len180_dim1_sp_op_CI_CI
	.p2align	8
	.type	bluestein_single_back_len180_dim1_sp_op_CI_CI,@function
bluestein_single_back_len180_dim1_sp_op_CI_CI: ; @bluestein_single_back_len180_dim1_sp_op_CI_CI
; %bb.0:
	s_load_dwordx4 s[0:3], s[4:5], 0x28
	v_mul_u32_u24_e32 v1, 0x445, v0
	v_lshrrev_b32_e32 v1, 16, v1
	v_lshl_add_u32 v32, s6, 2, v1
	v_mov_b32_e32 v33, 0
	s_waitcnt lgkmcnt(0)
	v_cmp_gt_u64_e32 vcc, s[0:1], v[32:33]
	s_and_saveexec_b64 s[0:1], vcc
	s_cbranch_execz .LBB0_23
; %bb.1:
	s_load_dwordx2 s[10:11], s[4:5], 0x0
	s_load_dwordx2 s[8:9], s[4:5], 0x38
	v_mul_lo_u16_e32 v2, 60, v1
	v_sub_u16_e32 v35, v0, v2
	v_and_b32_e32 v0, 3, v1
	v_mul_u32_u24_e32 v37, 0xb4, v0
	v_cmp_gt_u16_e32 vcc, 18, v35
	v_lshlrev_b32_e32 v36, 3, v35
	v_lshlrev_b32_e32 v38, 3, v37
	s_and_saveexec_b64 s[6:7], vcc
	s_cbranch_execz .LBB0_3
; %bb.2:
	s_load_dwordx2 s[0:1], s[4:5], 0x18
	v_lshl_add_u32 v47, v35, 3, v38
	s_waitcnt lgkmcnt(0)
	s_load_dwordx4 s[12:15], s[0:1], 0x0
	s_waitcnt lgkmcnt(0)
	v_mad_u64_u32 v[0:1], s[0:1], s14, v32, 0
	v_mad_u64_u32 v[2:3], s[0:1], s12, v35, 0
	;; [unrolled: 1-line block ×4, first 2 shown]
	v_mov_b32_e32 v1, v4
	v_lshlrev_b64 v[0:1], 3, v[0:1]
	v_mov_b32_e32 v3, v5
	v_mov_b32_e32 v6, s3
	v_lshlrev_b64 v[2:3], 3, v[2:3]
	v_add_co_u32_e64 v0, s[0:1], s2, v0
	v_addc_co_u32_e64 v1, s[0:1], v6, v1, s[0:1]
	v_add_co_u32_e64 v0, s[0:1], v0, v2
	v_addc_co_u32_e64 v1, s[0:1], v1, v3, s[0:1]
	s_mul_i32 s0, s13, 0x90
	s_mul_hi_u32 s1, s12, 0x90
	s_add_i32 s2, s1, s0
	s_mul_i32 s3, s12, 0x90
	v_mov_b32_e32 v3, s2
	v_add_co_u32_e64 v2, s[0:1], s3, v0
	v_addc_co_u32_e64 v3, s[0:1], v1, v3, s[0:1]
	v_mov_b32_e32 v5, s2
	v_add_co_u32_e64 v4, s[0:1], s3, v2
	v_addc_co_u32_e64 v5, s[0:1], v3, v5, s[0:1]
	v_mov_b32_e32 v7, s2
	v_add_co_u32_e64 v6, s[0:1], s3, v4
	v_addc_co_u32_e64 v7, s[0:1], v5, v7, s[0:1]
	global_load_dwordx2 v[8:9], v36, s[10:11]
	global_load_dwordx2 v[10:11], v36, s[10:11] offset:144
	global_load_dwordx2 v[12:13], v36, s[10:11] offset:288
	;; [unrolled: 1-line block ×3, first 2 shown]
	global_load_dwordx2 v[16:17], v[0:1], off
	global_load_dwordx2 v[18:19], v[2:3], off
	;; [unrolled: 1-line block ×4, first 2 shown]
	v_mov_b32_e32 v1, s2
	v_add_co_u32_e64 v0, s[0:1], s3, v6
	v_addc_co_u32_e64 v1, s[0:1], v7, v1, s[0:1]
	global_load_dwordx2 v[2:3], v[0:1], off
	global_load_dwordx2 v[4:5], v36, s[10:11] offset:576
	global_load_dwordx2 v[6:7], v36, s[10:11] offset:720
	;; [unrolled: 1-line block ×4, first 2 shown]
	v_mov_b32_e32 v28, s2
	v_add_co_u32_e64 v0, s[0:1], s3, v0
	v_addc_co_u32_e64 v1, s[0:1], v1, v28, s[0:1]
	v_mov_b32_e32 v30, s2
	global_load_dwordx2 v[28:29], v[0:1], off
	v_add_co_u32_e64 v0, s[0:1], s3, v0
	v_addc_co_u32_e64 v1, s[0:1], v1, v30, s[0:1]
	v_mov_b32_e32 v31, s2
	v_add_co_u32_e64 v30, s[0:1], s3, v0
	v_addc_co_u32_e64 v31, s[0:1], v1, v31, s[0:1]
	global_load_dwordx2 v[33:34], v[0:1], off
	global_load_dwordx2 v[39:40], v[30:31], off
	v_mov_b32_e32 v1, s2
	v_add_co_u32_e64 v0, s[0:1], s3, v30
	v_addc_co_u32_e64 v1, s[0:1], v31, v1, s[0:1]
	global_load_dwordx2 v[30:31], v[0:1], off
	global_load_dwordx2 v[41:42], v36, s[10:11] offset:1152
	v_mov_b32_e32 v43, s2
	v_add_co_u32_e64 v0, s[0:1], s3, v0
	v_addc_co_u32_e64 v1, s[0:1], v1, v43, s[0:1]
	global_load_dwordx2 v[43:44], v36, s[10:11] offset:1296
	global_load_dwordx2 v[45:46], v[0:1], off
	s_waitcnt vmcnt(15)
	v_mul_f32_e32 v1, v16, v9
	v_mul_f32_e32 v0, v17, v9
	v_fma_f32 v1, v17, v8, -v1
	v_fmac_f32_e32 v0, v16, v8
	s_waitcnt vmcnt(14)
	v_mul_f32_e32 v9, v18, v11
	v_mul_f32_e32 v8, v19, v11
	v_fma_f32 v9, v19, v10, -v9
	v_fmac_f32_e32 v8, v18, v10
	;; [unrolled: 5-line block ×3, first 2 shown]
	v_add_u32_e32 v12, v38, v36
	ds_write_b64 v47, v[0:1]
	ds_write2_b64 v12, v[8:9], v[10:11] offset0:18 offset1:36
	s_waitcnt vmcnt(10)
	v_mul_f32_e32 v8, v2, v5
	v_mul_f32_e32 v0, v23, v15
	;; [unrolled: 1-line block ×3, first 2 shown]
	v_fma_f32 v9, v3, v4, -v8
	v_mul_f32_e32 v8, v3, v5
	v_fmac_f32_e32 v0, v22, v14
	v_fma_f32 v1, v23, v14, -v1
	v_fmac_f32_e32 v8, v2, v4
	ds_write2_b64 v12, v[0:1], v[8:9] offset0:54 offset1:72
	s_waitcnt vmcnt(6)
	v_mul_f32_e32 v0, v28, v7
	v_fma_f32 v1, v29, v6, -v0
	v_mul_f32_e32 v0, v29, v7
	s_waitcnt vmcnt(5)
	v_mul_f32_e32 v2, v34, v25
	v_mul_f32_e32 v3, v33, v25
	v_fmac_f32_e32 v0, v28, v6
	v_fmac_f32_e32 v2, v33, v24
	v_fma_f32 v3, v34, v24, -v3
	ds_write2_b64 v12, v[0:1], v[2:3] offset0:90 offset1:108
	s_waitcnt vmcnt(4)
	v_mul_f32_e32 v0, v39, v27
	v_fma_f32 v1, v40, v26, -v0
	v_mul_f32_e32 v0, v40, v27
	s_waitcnt vmcnt(2)
	v_mul_f32_e32 v2, v31, v42
	v_mul_f32_e32 v3, v30, v42
	v_fmac_f32_e32 v0, v39, v26
	v_fmac_f32_e32 v2, v30, v41
	v_fma_f32 v3, v31, v41, -v3
	ds_write2_b64 v12, v[0:1], v[2:3] offset0:126 offset1:144
	s_waitcnt vmcnt(0)
	v_mul_f32_e32 v0, v46, v44
	v_mul_f32_e32 v1, v45, v44
	v_fmac_f32_e32 v0, v45, v43
	v_fma_f32 v1, v46, v43, -v1
	ds_write_b64 v12, v[0:1] offset:1296
.LBB0_3:
	s_or_b64 exec, exec, s[6:7]
	s_waitcnt lgkmcnt(0)
	s_barrier
	s_waitcnt lgkmcnt(0)
                                        ; implicit-def: $vgpr0
                                        ; implicit-def: $vgpr4
                                        ; implicit-def: $vgpr10
                                        ; implicit-def: $vgpr14
                                        ; implicit-def: $vgpr20
	s_and_saveexec_b64 s[0:1], vcc
	s_cbranch_execz .LBB0_5
; %bb.4:
	v_lshl_add_u32 v8, v37, 3, v36
	ds_read2_b64 v[0:3], v8 offset1:18
	ds_read2_b64 v[4:7], v8 offset0:36 offset1:54
	ds_read2_b64 v[10:13], v8 offset0:72 offset1:90
	;; [unrolled: 1-line block ×4, first 2 shown]
.LBB0_5:
	s_or_b64 exec, exec, s[0:1]
	s_waitcnt lgkmcnt(1)
	v_add_f32_e32 v8, v10, v14
	v_fma_f32 v25, -0.5, v8, v0
	s_waitcnt lgkmcnt(0)
	v_add_f32_e32 v8, v4, v20
	v_add_f32_e32 v24, v0, v4
	v_fmac_f32_e32 v0, -0.5, v8
	v_sub_f32_e32 v8, v10, v4
	v_sub_f32_e32 v9, v14, v20
	v_add_f32_e32 v26, v8, v9
	v_add_f32_e32 v8, v11, v15
	v_fma_f32 v28, -0.5, v8, v1
	v_add_f32_e32 v8, v5, v21
	v_add_f32_e32 v27, v1, v5
	v_fmac_f32_e32 v1, -0.5, v8
	v_sub_f32_e32 v8, v11, v5
	v_sub_f32_e32 v9, v15, v21
	v_add_f32_e32 v29, v8, v9
	v_add_f32_e32 v8, v12, v16
	v_fma_f32 v30, -0.5, v8, v2
	;; [unrolled: 8-line block ×3, first 2 shown]
	v_add_f32_e32 v8, v7, v23
	v_sub_f32_e32 v47, v13, v17
	v_add_f32_e32 v39, v3, v7
	v_fmac_f32_e32 v3, -0.5, v8
	v_mov_b32_e32 v48, v2
	v_fmac_f32_e32 v2, 0x3f737871, v47
	v_sub_f32_e32 v49, v7, v23
	v_sub_f32_e32 v50, v12, v16
	;; [unrolled: 1-line block ×5, first 2 shown]
	v_fmac_f32_e32 v2, 0xbf167918, v49
	v_mov_b32_e32 v51, v3
	v_fmac_f32_e32 v3, 0xbf737871, v50
	v_sub_f32_e32 v52, v6, v22
	v_add_f32_e32 v40, v8, v9
	v_mov_b32_e32 v42, v0
	v_fmac_f32_e32 v0, 0x3f737871, v41
	v_sub_f32_e32 v43, v5, v21
	v_fmac_f32_e32 v2, 0x3e9e377a, v33
	v_fmac_f32_e32 v3, 0x3f167918, v52
	s_mov_b32 s0, 0x3f737871
	v_fmac_f32_e32 v0, 0xbf167918, v43
	v_fmac_f32_e32 v3, 0x3e9e377a, v40
	v_mul_f32_e32 v8, 0x3e9e377a, v2
	v_fmac_f32_e32 v0, 0x3e9e377a, v26
	v_sub_f32_e32 v44, v10, v14
	v_fma_f32 v8, v3, s0, -v8
	v_mov_b32_e32 v45, v1
	v_fmac_f32_e32 v1, 0xbf737871, v44
	v_sub_f32_e32 v46, v4, v20
	v_add_f32_e32 v18, v0, v8
	v_sub_f32_e32 v8, v0, v8
	v_sub_f32_e32 v0, v4, v10
	v_add_f32_e32 v4, v24, v10
	v_sub_f32_e32 v10, v20, v14
	s_mov_b32 s1, 0xbf737871
	v_fmac_f32_e32 v1, 0x3f167918, v46
	v_mul_f32_e32 v3, 0x3e9e377a, v3
	v_add_f32_e32 v0, v0, v10
	v_mov_b32_e32 v10, v25
	v_fmac_f32_e32 v1, 0x3e9e377a, v29
	v_fma_f32 v2, v2, s1, -v3
	v_fmac_f32_e32 v10, 0x3f737871, v43
	v_fmac_f32_e32 v25, 0xbf737871, v43
	v_add_f32_e32 v19, v1, v2
	v_sub_f32_e32 v9, v1, v2
	v_sub_f32_e32 v2, v6, v12
	v_add_f32_e32 v6, v31, v12
	v_sub_f32_e32 v12, v22, v16
	v_fmac_f32_e32 v10, 0x3f167918, v41
	v_fmac_f32_e32 v25, 0xbf167918, v41
	;; [unrolled: 1-line block ×4, first 2 shown]
	v_add_f32_e32 v0, v2, v12
	v_mov_b32_e32 v2, v30
	v_fmac_f32_e32 v2, 0x3f737871, v49
	v_fmac_f32_e32 v30, 0xbf737871, v49
	v_sub_f32_e32 v3, v7, v13
	v_add_f32_e32 v7, v39, v13
	v_sub_f32_e32 v13, v23, v17
	v_fmac_f32_e32 v2, 0x3f167918, v47
	v_fmac_f32_e32 v30, 0xbf167918, v47
	;; [unrolled: 1-line block ×4, first 2 shown]
	v_add_f32_e32 v0, v3, v13
	v_mov_b32_e32 v3, v34
	v_fmac_f32_e32 v51, 0x3f737871, v50
	v_fmac_f32_e32 v48, 0xbf737871, v47
	;; [unrolled: 1-line block ×14, first 2 shown]
	v_mul_f32_e32 v0, 0x3f4f1bbd, v2
	v_mul_f32_e32 v12, 0x3f737871, v51
	v_add_f32_e32 v6, v6, v16
	v_fmac_f32_e32 v42, 0x3e9e377a, v26
	v_fmac_f32_e32 v0, 0x3f167918, v3
	;; [unrolled: 1-line block ×3, first 2 shown]
	v_add_f32_e32 v4, v4, v14
	v_add_f32_e32 v6, v6, v22
	s_mov_b32 s0, 0x3f167918
	v_add_f32_e32 v16, v42, v12
	v_sub_f32_e32 v14, v42, v12
	v_sub_f32_e32 v12, v10, v0
	v_add_f32_e32 v22, v10, v0
	v_mul_f32_e32 v0, 0x3f4f1bbd, v30
	v_sub_f32_e32 v1, v5, v11
	v_add_f32_e32 v5, v27, v11
	v_sub_f32_e32 v11, v21, v15
	v_fma_f32 v0, v34, s0, -v0
	v_add_f32_e32 v24, v25, v0
	v_sub_f32_e32 v10, v25, v0
	v_add_f32_e32 v0, v1, v11
	v_mul_f32_e32 v1, 0xbf167918, v2
	v_mov_b32_e32 v2, v28
	v_fmac_f32_e32 v2, 0xbf737871, v46
	v_fmac_f32_e32 v2, 0xbf167918, v44
	;; [unrolled: 1-line block ×3, first 2 shown]
	s_load_dwordx2 s[2:3], s[4:5], 0x8
	v_add_f32_e32 v7, v7, v17
	v_fmac_f32_e32 v1, 0x3f4f1bbd, v3
	v_fmac_f32_e32 v2, 0x3e9e377a, v0
	;; [unrolled: 1-line block ×4, first 2 shown]
	v_add_f32_e32 v5, v5, v15
	v_add_f32_e32 v7, v7, v23
	;; [unrolled: 1-line block ×3, first 2 shown]
	v_sub_f32_e32 v13, v2, v1
	v_fmac_f32_e32 v45, 0xbf167918, v46
	v_mul_f32_e32 v1, 0xbf737871, v48
	v_fmac_f32_e32 v28, 0x3e9e377a, v0
	s_mov_b32 s0, 0xbf167918
	v_mul_f32_e32 v0, 0x3f4f1bbd, v34
	v_add_f32_e32 v4, v4, v20
	v_add_f32_e32 v5, v5, v21
	v_fmac_f32_e32 v45, 0x3e9e377a, v29
	v_fmac_f32_e32 v1, 0x3e9e377a, v51
	v_fma_f32 v0, v30, s0, -v0
	v_add_f32_e32 v20, v4, v6
	v_sub_f32_e32 v26, v4, v6
	v_add_f32_e32 v21, v5, v7
	v_sub_f32_e32 v27, v5, v7
	;; [unrolled: 2-line block ×4, first 2 shown]
	v_mul_lo_u16_e32 v42, 10, v35
	s_waitcnt lgkmcnt(0)
	s_barrier
	s_and_saveexec_b64 s[0:1], vcc
	s_cbranch_execz .LBB0_7
; %bb.6:
	v_add_lshl_u32 v0, v37, v42, 3
	ds_write_b128 v0, v[20:23]
	ds_write_b128 v0, v[16:19] offset:16
	ds_write_b128 v0, v[24:27] offset:32
	ds_write_b128 v0, v[12:15] offset:48
	ds_write_b128 v0, v[8:11] offset:64
.LBB0_7:
	s_or_b64 exec, exec, s[0:1]
	s_load_dwordx2 s[4:5], s[4:5], 0x20
	v_cmp_gt_u16_e64 s[0:1], 30, v35
	v_add_lshl_u32 v39, v37, v35, 3
	s_waitcnt lgkmcnt(0)
	s_barrier
	s_and_saveexec_b64 s[6:7], s[0:1]
	s_cbranch_execz .LBB0_9
; %bb.8:
	ds_read2_b64 v[20:23], v39 offset1:30
	ds_read2_b64 v[16:19], v39 offset0:60 offset1:90
	ds_read2_b64 v[24:27], v39 offset0:120 offset1:150
.LBB0_9:
	s_or_b64 exec, exec, s[6:7]
	s_movk_i32 s6, 0xcd
	v_mul_lo_u16_sdwa v0, v35, s6 dst_sel:DWORD dst_unused:UNUSED_PAD src0_sel:BYTE_0 src1_sel:DWORD
	v_lshrrev_b16_e32 v43, 11, v0
	v_mul_lo_u16_e32 v0, 10, v43
	v_sub_u16_e32 v0, v35, v0
	v_and_b32_e32 v41, 0xff, v0
	v_mad_u64_u32 v[28:29], s[6:7], v41, 40, s[2:3]
	v_mul_lo_u16_e32 v43, 60, v43
	global_load_dwordx4 v[0:3], v[28:29], off
	global_load_dwordx4 v[4:7], v[28:29], off offset:16
	global_load_dwordx2 v[33:34], v[28:29], off offset:32
	s_waitcnt vmcnt(0) lgkmcnt(0)
	s_barrier
	v_mul_f32_e32 v44, v22, v1
	v_mul_f32_e32 v30, v16, v3
	;; [unrolled: 1-line block ×10, first 2 shown]
	v_fmac_f32_e32 v44, v23, v0
	v_fmac_f32_e32 v30, v17, v2
	v_fma_f32 v17, v18, v4, -v31
	v_fmac_f32_e32 v40, v19, v4
	v_fmac_f32_e32 v46, v25, v6
	v_fma_f32 v19, v26, v33, -v47
	v_fmac_f32_e32 v48, v27, v33
	v_fma_f32 v49, v22, v0, -v28
	v_fma_f32 v16, v16, v2, -v29
	v_fma_f32 v18, v24, v6, -v45
	v_sub_f32_e32 v24, v30, v46
	v_add_f32_e32 v25, v21, v30
	v_add_f32_e32 v26, v30, v46
	;; [unrolled: 1-line block ×3, first 2 shown]
	v_sub_f32_e32 v30, v40, v48
	v_add_f32_e32 v31, v44, v40
	v_add_f32_e32 v40, v40, v48
	;; [unrolled: 1-line block ×4, first 2 shown]
	v_fmac_f32_e32 v49, -0.5, v29
	v_fmac_f32_e32 v44, -0.5, v40
	v_add_f32_e32 v23, v16, v18
	v_sub_f32_e32 v27, v16, v18
	v_sub_f32_e32 v45, v17, v19
	v_add_f32_e32 v16, v22, v18
	v_add_f32_e32 v18, v25, v46
	v_fmac_f32_e32 v21, -0.5, v26
	v_mov_b32_e32 v25, v49
	v_fmac_f32_e32 v49, 0xbf5db3d7, v30
	v_mov_b32_e32 v26, v44
	v_fmac_f32_e32 v20, -0.5, v23
	v_fmac_f32_e32 v44, 0x3f5db3d7, v45
	v_fmac_f32_e32 v25, 0x3f5db3d7, v30
	;; [unrolled: 1-line block ×3, first 2 shown]
	v_mul_f32_e32 v30, -0.5, v49
	v_add_f32_e32 v17, v28, v19
	v_add_f32_e32 v28, v31, v48
	v_mov_b32_e32 v19, v20
	v_mov_b32_e32 v29, v21
	v_mul_f32_e32 v40, -0.5, v44
	v_mul_f32_e32 v31, 0x3f5db3d7, v26
	v_fmac_f32_e32 v30, 0x3f5db3d7, v44
	v_mul_f32_e32 v44, 0xbf5db3d7, v25
	v_fmac_f32_e32 v20, 0xbf5db3d7, v24
	v_fmac_f32_e32 v21, 0x3f5db3d7, v27
	;; [unrolled: 1-line block ×5, first 2 shown]
	v_fmac_f32_e32 v31, 0.5, v25
	v_fmac_f32_e32 v44, 0.5, v26
	v_sub_f32_e32 v22, v16, v17
	v_sub_f32_e32 v23, v18, v28
	;; [unrolled: 1-line block ×6, first 2 shown]
	s_and_saveexec_b64 s[6:7], s[0:1]
	s_cbranch_execz .LBB0_11
; %bb.10:
	v_add_f32_e32 v17, v16, v17
	v_and_b32_e32 v16, 0xfc, v43
	v_add_u32_e32 v16, v16, v41
	v_add_f32_e32 v29, v29, v44
	v_add_f32_e32 v18, v18, v28
	;; [unrolled: 1-line block ×3, first 2 shown]
	v_add_lshl_u32 v16, v37, v16, 3
	v_add_f32_e32 v21, v21, v40
	v_add_f32_e32 v20, v20, v30
	ds_write2_b64 v16, v[17:18], v[28:29] offset1:10
	ds_write2_b64 v16, v[20:21], v[22:23] offset0:20 offset1:30
	ds_write2_b64 v16, v[24:25], v[26:27] offset0:40 offset1:50
.LBB0_11:
	s_or_b64 exec, exec, s[6:7]
	v_lshlrev_b32_e32 v16, 4, v35
	s_load_dwordx4 s[4:7], s[4:5], 0x0
	s_waitcnt lgkmcnt(0)
	s_barrier
	global_load_dwordx4 v[16:19], v16, s[2:3] offset:400
	ds_read2_b64 v[44:47], v39 offset1:60
	ds_read_b64 v[20:21], v39 offset:960
	v_lshl_add_u32 v40, v35, 3, v38
	s_waitcnt vmcnt(0) lgkmcnt(1)
	v_mul_f32_e32 v28, v47, v17
	v_mul_f32_e32 v29, v46, v17
	s_waitcnt lgkmcnt(0)
	v_mul_f32_e32 v30, v21, v19
	v_mul_f32_e32 v31, v20, v19
	v_fma_f32 v28, v46, v16, -v28
	v_fmac_f32_e32 v29, v47, v16
	v_fma_f32 v20, v20, v18, -v30
	v_fmac_f32_e32 v31, v21, v18
	v_add_f32_e32 v21, v44, v28
	v_add_f32_e32 v30, v28, v20
	;; [unrolled: 1-line block ×4, first 2 shown]
	v_sub_f32_e32 v49, v28, v20
	v_add_f32_e32 v28, v21, v20
	v_fma_f32 v20, -0.5, v30, v44
	v_fma_f32 v21, -0.5, v48, v45
	v_sub_f32_e32 v46, v29, v31
	v_add_f32_e32 v29, v47, v31
	v_mov_b32_e32 v30, v20
	v_mov_b32_e32 v31, v21
	v_fmac_f32_e32 v20, 0xbf5db3d7, v46
	v_fmac_f32_e32 v21, 0x3f5db3d7, v49
	;; [unrolled: 1-line block ×4, first 2 shown]
	ds_write_b64 v40, v[20:21] offset:960
	ds_write2_b64 v40, v[28:29], v[30:31] offset1:60
	s_waitcnt lgkmcnt(0)
	s_barrier
	s_and_saveexec_b64 s[2:3], vcc
	s_cbranch_execz .LBB0_13
; %bb.12:
	global_load_dwordx2 v[48:49], v36, s[10:11] offset:1440
	ds_read2_b64 v[44:47], v40 offset1:18
	s_add_u32 s12, s10, 0x5a0
	s_addc_u32 s13, s11, 0
	s_waitcnt vmcnt(0) lgkmcnt(0)
	v_mul_f32_e32 v50, v45, v49
	v_mul_f32_e32 v51, v44, v49
	v_fma_f32 v50, v44, v48, -v50
	v_fmac_f32_e32 v51, v45, v48
	global_load_dwordx2 v[44:45], v36, s[12:13] offset:144
	s_waitcnt vmcnt(0)
	v_mul_f32_e32 v48, v47, v45
	v_mul_f32_e32 v49, v46, v45
	v_fma_f32 v48, v46, v44, -v48
	v_fmac_f32_e32 v49, v47, v44
	ds_write2_b64 v40, v[50:51], v[48:49] offset1:18
	global_load_dwordx2 v[48:49], v36, s[12:13] offset:288
	ds_read2_b64 v[44:47], v40 offset0:36 offset1:54
	s_waitcnt vmcnt(0) lgkmcnt(0)
	v_mul_f32_e32 v50, v45, v49
	v_mul_f32_e32 v51, v44, v49
	v_fma_f32 v50, v44, v48, -v50
	v_fmac_f32_e32 v51, v45, v48
	global_load_dwordx2 v[44:45], v36, s[12:13] offset:432
	s_waitcnt vmcnt(0)
	v_mul_f32_e32 v48, v47, v45
	v_mul_f32_e32 v49, v46, v45
	v_fma_f32 v48, v46, v44, -v48
	v_fmac_f32_e32 v49, v47, v44
	ds_write2_b64 v40, v[50:51], v[48:49] offset0:36 offset1:54
	global_load_dwordx2 v[48:49], v36, s[12:13] offset:576
	ds_read2_b64 v[44:47], v40 offset0:72 offset1:90
	s_waitcnt vmcnt(0) lgkmcnt(0)
	v_mul_f32_e32 v50, v45, v49
	v_mul_f32_e32 v51, v44, v49
	v_fma_f32 v50, v44, v48, -v50
	v_fmac_f32_e32 v51, v45, v48
	global_load_dwordx2 v[44:45], v36, s[12:13] offset:720
	s_waitcnt vmcnt(0)
	v_mul_f32_e32 v48, v47, v45
	v_mul_f32_e32 v49, v46, v45
	v_fma_f32 v48, v46, v44, -v48
	v_fmac_f32_e32 v49, v47, v44
	ds_write2_b64 v40, v[50:51], v[48:49] offset0:72 offset1:90
	;; [unrolled: 14-line block ×4, first 2 shown]
.LBB0_13:
	s_or_b64 exec, exec, s[2:3]
	s_waitcnt lgkmcnt(0)
	s_barrier
	s_and_saveexec_b64 s[2:3], vcc
	s_cbranch_execz .LBB0_15
; %bb.14:
	ds_read2_b64 v[28:31], v40 offset1:18
	ds_read2_b64 v[20:23], v40 offset0:36 offset1:54
	ds_read2_b64 v[24:27], v40 offset0:72 offset1:90
	;; [unrolled: 1-line block ×4, first 2 shown]
.LBB0_15:
	s_or_b64 exec, exec, s[2:3]
	s_waitcnt lgkmcnt(3)
	v_add_f32_e32 v44, v28, v20
	s_waitcnt lgkmcnt(2)
	v_add_f32_e32 v44, v44, v24
	;; [unrolled: 2-line block ×4, first 2 shown]
	v_add_f32_e32 v44, v24, v12
	v_fma_f32 v45, -0.5, v44, v28
	v_sub_f32_e32 v47, v21, v9
	v_mov_b32_e32 v44, v45
	v_fmac_f32_e32 v44, 0xbf737871, v47
	v_sub_f32_e32 v48, v25, v13
	v_sub_f32_e32 v46, v20, v24
	;; [unrolled: 1-line block ×3, first 2 shown]
	v_fmac_f32_e32 v45, 0x3f737871, v47
	v_fmac_f32_e32 v44, 0xbf167918, v48
	v_add_f32_e32 v46, v46, v49
	v_fmac_f32_e32 v45, 0x3f167918, v48
	v_fmac_f32_e32 v44, 0x3e9e377a, v46
	;; [unrolled: 1-line block ×3, first 2 shown]
	v_add_f32_e32 v46, v20, v8
	v_fmac_f32_e32 v28, -0.5, v46
	v_mov_b32_e32 v46, v28
	v_fmac_f32_e32 v46, 0x3f737871, v48
	v_fmac_f32_e32 v28, 0xbf737871, v48
	v_fmac_f32_e32 v46, 0xbf167918, v47
	v_fmac_f32_e32 v28, 0x3f167918, v47
	v_add_f32_e32 v47, v29, v21
	v_add_f32_e32 v47, v47, v25
	v_add_f32_e32 v47, v47, v13
	v_add_f32_e32 v53, v47, v9
	v_add_f32_e32 v47, v25, v13
	v_fma_f32 v48, -0.5, v47, v29
	v_sub_f32_e32 v50, v12, v8
	v_sub_f32_e32 v8, v20, v8
	v_mov_b32_e32 v47, v48
	v_sub_f32_e32 v49, v24, v20
	v_fmac_f32_e32 v47, 0x3f737871, v8
	v_sub_f32_e32 v12, v24, v12
	v_sub_f32_e32 v20, v21, v25
	;; [unrolled: 1-line block ×3, first 2 shown]
	v_fmac_f32_e32 v48, 0xbf737871, v8
	v_fmac_f32_e32 v47, 0x3f167918, v12
	v_add_f32_e32 v20, v20, v24
	v_fmac_f32_e32 v48, 0xbf167918, v12
	v_fmac_f32_e32 v47, 0x3e9e377a, v20
	;; [unrolled: 1-line block ×3, first 2 shown]
	v_add_f32_e32 v20, v21, v9
	v_fmac_f32_e32 v29, -0.5, v20
	v_mov_b32_e32 v24, v29
	v_fmac_f32_e32 v24, 0xbf737871, v12
	v_fmac_f32_e32 v29, 0x3f737871, v12
	;; [unrolled: 1-line block ×4, first 2 shown]
	v_add_f32_e32 v8, v30, v22
	v_add_f32_e32 v8, v8, v26
	;; [unrolled: 1-line block ×5, first 2 shown]
	v_sub_f32_e32 v20, v25, v21
	v_sub_f32_e32 v9, v13, v9
	v_fma_f32 v21, -0.5, v8, v30
	v_add_f32_e32 v9, v20, v9
	v_sub_f32_e32 v8, v23, v11
	v_mov_b32_e32 v13, v21
	v_fmac_f32_e32 v24, 0x3e9e377a, v9
	v_fmac_f32_e32 v29, 0x3e9e377a, v9
	;; [unrolled: 1-line block ×3, first 2 shown]
	v_sub_f32_e32 v9, v27, v15
	v_sub_f32_e32 v12, v22, v26
	;; [unrolled: 1-line block ×3, first 2 shown]
	v_fmac_f32_e32 v21, 0x3f737871, v8
	v_fmac_f32_e32 v13, 0xbf167918, v9
	v_add_f32_e32 v12, v12, v20
	v_fmac_f32_e32 v21, 0x3f167918, v9
	v_fmac_f32_e32 v13, 0x3e9e377a, v12
	;; [unrolled: 1-line block ×3, first 2 shown]
	v_add_f32_e32 v12, v22, v10
	v_fmac_f32_e32 v30, -0.5, v12
	v_mov_b32_e32 v55, v30
	v_fmac_f32_e32 v55, 0x3f737871, v9
	v_fmac_f32_e32 v30, 0xbf737871, v9
	v_fmac_f32_e32 v55, 0xbf167918, v8
	v_fmac_f32_e32 v30, 0x3f167918, v8
	v_add_f32_e32 v8, v31, v23
	v_add_f32_e32 v8, v8, v27
	;; [unrolled: 1-line block ×5, first 2 shown]
	v_sub_f32_e32 v12, v26, v22
	v_sub_f32_e32 v20, v14, v10
	v_fma_f32 v57, -0.5, v8, v31
	v_add_f32_e32 v12, v12, v20
	v_sub_f32_e32 v8, v22, v10
	v_mov_b32_e32 v22, v57
	v_fmac_f32_e32 v55, 0x3e9e377a, v12
	v_fmac_f32_e32 v30, 0x3e9e377a, v12
	;; [unrolled: 1-line block ×3, first 2 shown]
	v_sub_f32_e32 v9, v26, v14
	v_sub_f32_e32 v10, v23, v27
	;; [unrolled: 1-line block ×3, first 2 shown]
	v_fmac_f32_e32 v57, 0xbf737871, v8
	v_fmac_f32_e32 v22, 0x3f167918, v9
	v_add_f32_e32 v10, v10, v12
	v_fmac_f32_e32 v57, 0xbf167918, v9
	v_fmac_f32_e32 v22, 0x3e9e377a, v10
	;; [unrolled: 1-line block ×3, first 2 shown]
	v_add_f32_e32 v10, v23, v11
	v_fmac_f32_e32 v31, -0.5, v10
	v_mov_b32_e32 v51, v31
	v_sub_f32_e32 v10, v27, v23
	v_sub_f32_e32 v11, v15, v11
	v_fmac_f32_e32 v31, 0x3f737871, v9
	v_fmac_f32_e32 v51, 0xbf737871, v9
	v_add_f32_e32 v10, v10, v11
	v_fmac_f32_e32 v31, 0xbf167918, v8
	v_fmac_f32_e32 v51, 0x3f167918, v8
	;; [unrolled: 1-line block ×3, first 2 shown]
	v_add_f32_e32 v49, v49, v50
	v_fmac_f32_e32 v51, 0x3e9e377a, v10
	v_mul_f32_e32 v27, 0xbf737871, v31
	v_mul_f32_e32 v31, 0xbe9e377a, v31
	v_fmac_f32_e32 v46, 0x3e9e377a, v49
	v_fmac_f32_e32 v28, 0x3e9e377a, v49
	v_mul_f32_e32 v25, 0xbf167918, v22
	v_mul_f32_e32 v26, 0xbf737871, v51
	v_fmac_f32_e32 v27, 0xbe9e377a, v30
	v_mul_f32_e32 v49, 0xbf167918, v57
	v_mul_f32_e32 v50, 0x3f167918, v13
	;; [unrolled: 1-line block ×3, first 2 shown]
	v_fmac_f32_e32 v31, 0x3f737871, v30
	v_mul_f32_e32 v30, 0xbf4f1bbd, v57
	v_fmac_f32_e32 v25, 0x3f4f1bbd, v13
	v_fmac_f32_e32 v26, 0x3e9e377a, v55
	v_fmac_f32_e32 v49, 0xbf4f1bbd, v21
	v_fmac_f32_e32 v50, 0x3f4f1bbd, v22
	v_fmac_f32_e32 v51, 0x3f737871, v55
	v_fmac_f32_e32 v30, 0x3f167918, v21
	v_add_f32_e32 v8, v52, v54
	v_add_f32_e32 v10, v44, v25
	;; [unrolled: 1-line block ×10, first 2 shown]
	v_sub_f32_e32 v22, v52, v54
	v_sub_f32_e32 v23, v53, v56
	s_barrier
	s_and_saveexec_b64 s[2:3], vcc
	s_cbranch_execz .LBB0_17
; %bb.16:
	v_sub_f32_e32 v52, v29, v31
	v_sub_f32_e32 v31, v24, v51
	v_lshl_add_u32 v24, v42, 3, v38
	v_sub_f32_e32 v54, v48, v30
	v_sub_f32_e32 v29, v47, v50
	;; [unrolled: 1-line block ×6, first 2 shown]
	ds_write_b128 v24, v[8:11]
	ds_write_b128 v24, v[12:15] offset:16
	ds_write_b128 v24, v[20:23] offset:32
	;; [unrolled: 1-line block ×4, first 2 shown]
.LBB0_17:
	s_or_b64 exec, exec, s[2:3]
	s_waitcnt lgkmcnt(0)
	s_barrier
	s_and_saveexec_b64 s[2:3], s[0:1]
	s_cbranch_execz .LBB0_19
; %bb.18:
	ds_read2_b64 v[8:11], v39 offset1:30
	ds_read2_b64 v[12:15], v39 offset0:60 offset1:90
	ds_read2_b64 v[20:23], v39 offset0:120 offset1:150
.LBB0_19:
	s_or_b64 exec, exec, s[2:3]
	s_waitcnt lgkmcnt(0)
	s_barrier
	s_and_saveexec_b64 s[2:3], s[0:1]
	s_cbranch_execz .LBB0_21
; %bb.20:
	v_mul_f32_e32 v24, v3, v12
	v_mul_f32_e32 v25, v7, v20
	;; [unrolled: 1-line block ×3, first 2 shown]
	v_fma_f32 v24, v2, v13, -v24
	v_fma_f32 v25, v6, v21, -v25
	v_mul_f32_e32 v13, v3, v13
	v_fmac_f32_e32 v7, v6, v20
	v_mul_f32_e32 v20, v5, v15
	v_mul_f32_e32 v21, v34, v23
	v_fmac_f32_e32 v13, v2, v12
	v_mul_f32_e32 v12, v1, v11
	v_fmac_f32_e32 v20, v4, v14
	v_fmac_f32_e32 v21, v33, v22
	;; [unrolled: 1-line block ×3, first 2 shown]
	v_add_f32_e32 v3, v20, v21
	v_fma_f32 v27, -0.5, v3, v12
	v_mul_f32_e32 v3, v5, v14
	v_fma_f32 v4, v4, v15, -v3
	v_mul_f32_e32 v3, v34, v22
	v_add_f32_e32 v26, v24, v25
	v_fma_f32 v5, v33, v23, -v3
	v_mul_f32_e32 v1, v1, v10
	v_fma_f32 v26, -0.5, v26, v9
	v_fma_f32 v0, v0, v11, -v1
	v_add_f32_e32 v1, v4, v5
	v_sub_f32_e32 v2, v13, v7
	v_mov_b32_e32 v6, v26
	v_fma_f32 v10, -0.5, v1, v0
	v_sub_f32_e32 v11, v20, v21
	v_add_f32_e32 v0, v0, v4
	v_fmac_f32_e32 v6, 0xbf5db3d7, v2
	v_sub_f32_e32 v3, v4, v5
	v_mov_b32_e32 v15, v10
	v_fmac_f32_e32 v26, 0x3f5db3d7, v2
	v_fmac_f32_e32 v10, 0x3f5db3d7, v11
	v_add_f32_e32 v2, v9, v24
	v_add_f32_e32 v28, v0, v5
	;; [unrolled: 1-line block ×4, first 2 shown]
	v_mov_b32_e32 v14, v27
	v_fmac_f32_e32 v15, 0xbf5db3d7, v11
	v_fmac_f32_e32 v27, 0xbf5db3d7, v3
	v_mul_f32_e32 v11, 0.5, v10
	v_add_f32_e32 v23, v2, v25
	v_fma_f32 v29, -0.5, v0, v8
	v_sub_f32_e32 v2, v24, v25
	v_mul_f32_e32 v10, 0xbf5db3d7, v10
	v_add_f32_e32 v13, v4, v7
	v_add_f32_e32 v4, v12, v20
	v_mov_b32_e32 v24, v29
	v_fmac_f32_e32 v29, 0xbf5db3d7, v2
	v_fmac_f32_e32 v10, 0.5, v27
	v_add_f32_e32 v12, v4, v21
	v_fmac_f32_e32 v24, 0x3f5db3d7, v2
	v_sub_f32_e32 v2, v29, v10
	v_sub_f32_e32 v4, v13, v12
	v_add_f32_e32 v8, v29, v10
	v_add_f32_e32 v10, v13, v12
	v_and_b32_e32 v12, 0xfc, v43
	v_fmac_f32_e32 v14, 0x3f5db3d7, v3
	v_mul_f32_e32 v22, -0.5, v15
	v_fmac_f32_e32 v11, 0x3f5db3d7, v27
	v_mul_f32_e32 v15, 0xbf5db3d7, v15
	v_add_u32_e32 v12, v12, v41
	v_fmac_f32_e32 v22, 0x3f5db3d7, v14
	v_sub_f32_e32 v3, v26, v11
	v_fmac_f32_e32 v15, -0.5, v14
	v_add_f32_e32 v9, v26, v11
	v_add_f32_e32 v11, v23, v28
	v_lshl_add_u32 v12, v12, 3, v38
	v_sub_f32_e32 v1, v6, v22
	v_sub_f32_e32 v5, v23, v28
	;; [unrolled: 1-line block ×3, first 2 shown]
	v_add_f32_e32 v7, v6, v22
	v_add_f32_e32 v6, v24, v15
	ds_write2_b64 v12, v[10:11], v[8:9] offset1:10
	ds_write2_b64 v12, v[6:7], v[4:5] offset0:20 offset1:30
	ds_write2_b64 v12, v[2:3], v[0:1] offset0:40 offset1:50
.LBB0_21:
	s_or_b64 exec, exec, s[2:3]
	s_waitcnt lgkmcnt(0)
	s_barrier
	ds_read2_b64 v[0:3], v39 offset1:60
	ds_read_b64 v[4:5], v39 offset:960
	s_waitcnt lgkmcnt(1)
	v_mul_f32_e32 v6, v17, v3
	s_waitcnt lgkmcnt(0)
	v_mul_f32_e32 v8, v19, v5
	v_fmac_f32_e32 v6, v16, v2
	v_mul_f32_e32 v2, v17, v2
	v_fmac_f32_e32 v8, v18, v4
	v_fma_f32 v7, v16, v3, -v2
	v_mul_f32_e32 v2, v19, v4
	v_add_f32_e32 v3, v6, v8
	v_fma_f32 v5, v18, v5, -v2
	v_add_f32_e32 v2, v0, v6
	v_fma_f32 v0, -0.5, v3, v0
	v_sub_f32_e32 v3, v7, v5
	v_mov_b32_e32 v4, v0
	v_fmac_f32_e32 v4, 0xbf5db3d7, v3
	v_fmac_f32_e32 v0, 0x3f5db3d7, v3
	v_add_f32_e32 v3, v1, v7
	v_add_f32_e32 v3, v3, v5
	;; [unrolled: 1-line block ×3, first 2 shown]
	v_fma_f32 v1, -0.5, v5, v1
	v_sub_f32_e32 v6, v6, v8
	v_mov_b32_e32 v5, v1
	v_add_f32_e32 v2, v2, v8
	v_fmac_f32_e32 v5, 0x3f5db3d7, v6
	v_fmac_f32_e32 v1, 0xbf5db3d7, v6
	ds_write2_b64 v40, v[2:3], v[4:5] offset1:60
	ds_write_b64 v40, v[0:1] offset:960
	s_waitcnt lgkmcnt(0)
	s_barrier
	s_and_b64 exec, exec, vcc
	s_cbranch_execz .LBB0_23
; %bb.22:
	global_load_dwordx2 v[8:9], v36, s[10:11]
	global_load_dwordx2 v[10:11], v36, s[10:11] offset:144
	global_load_dwordx2 v[12:13], v36, s[10:11] offset:288
	;; [unrolled: 1-line block ×9, first 2 shown]
	v_mad_u64_u32 v[18:19], s[0:1], s6, v32, 0
	v_mad_u64_u32 v[20:21], s[2:3], s4, v35, 0
	s_mul_i32 s3, s5, 0x90
	s_mul_hi_u32 s6, s4, 0x90
	s_add_i32 s3, s6, s3
	v_mad_u64_u32 v[38:39], s[6:7], s7, v32, v[19:20]
	v_lshl_add_u32 v42, v37, 3, v36
	s_mul_i32 s2, s4, 0x90
	ds_read2_b64 v[0:3], v42 offset0:18 offset1:36
	ds_read2_b64 v[4:7], v42 offset0:54 offset1:72
	ds_read_b64 v[33:34], v40
	ds_read_b64 v[36:37], v42 offset:1296
	v_mov_b32_e32 v19, v38
	v_lshlrev_b64 v[18:19], 3, v[18:19]
	v_mov_b32_e32 v41, s9
	v_add_co_u32_e32 v18, vcc, s8, v18
	v_addc_co_u32_e32 v19, vcc, v41, v19, vcc
	v_mov_b32_e32 v43, s3
	v_mov_b32_e32 v32, s3
	s_mov_b32 s0, 0x16c16c17
	s_mov_b32 s1, 0x3f76c16c
	s_waitcnt vmcnt(4)
	v_mad_u64_u32 v[39:40], s[4:5], s5, v35, v[21:22]
	s_waitcnt lgkmcnt(3)
	v_mul_f32_e32 v40, v1, v11
	v_mul_f32_e32 v11, v0, v11
	v_mov_b32_e32 v21, v39
	v_lshlrev_b64 v[20:21], 3, v[20:21]
	v_mul_f32_e32 v41, v3, v13
	v_add_co_u32_e32 v18, vcc, v18, v20
	v_addc_co_u32_e32 v19, vcc, v19, v21, vcc
	v_add_co_u32_e32 v20, vcc, s2, v18
	v_addc_co_u32_e32 v21, vcc, v19, v43, vcc
	;; [unrolled: 2-line block ×3, first 2 shown]
	s_waitcnt lgkmcnt(1)
	v_mul_f32_e32 v32, v34, v9
	v_mul_f32_e32 v9, v33, v9
	v_mul_f32_e32 v13, v2, v13
	v_fmac_f32_e32 v32, v33, v8
	v_fma_f32 v8, v8, v34, -v9
	v_mul_f32_e32 v43, v5, v15
	v_mul_f32_e32 v15, v4, v15
	v_fmac_f32_e32 v40, v0, v10
	v_fma_f32 v9, v10, v1, -v11
	v_fmac_f32_e32 v41, v2, v12
	v_fma_f32 v12, v12, v3, -v13
	v_cvt_f64_f32_e32 v[0:1], v32
	v_cvt_f64_f32_e32 v[2:3], v8
	v_fmac_f32_e32 v43, v4, v14
	v_fma_f32 v33, v14, v5, -v15
	v_cvt_f64_f32_e32 v[4:5], v40
	v_cvt_f64_f32_e32 v[8:9], v9
	;; [unrolled: 1-line block ×4, first 2 shown]
	v_mul_f64 v[0:1], v[0:1], s[0:1]
	v_mul_f64 v[2:3], v[2:3], s[0:1]
	;; [unrolled: 1-line block ×6, first 2 shown]
	v_cvt_f64_f32_e32 v[14:15], v43
	v_cvt_f64_f32_e32 v[32:33], v33
	v_cvt_f32_f64_e32 v0, v[0:1]
	v_cvt_f32_f64_e32 v1, v[2:3]
	v_mul_f64 v[14:15], v[14:15], s[0:1]
	v_mul_f64 v[32:33], v[32:33], s[0:1]
	v_cvt_f32_f64_e32 v2, v[4:5]
	v_cvt_f32_f64_e32 v3, v[8:9]
	;; [unrolled: 1-line block ×4, first 2 shown]
	global_store_dwordx2 v[18:19], v[0:1], off
	global_store_dwordx2 v[20:21], v[2:3], off
	;; [unrolled: 1-line block ×3, first 2 shown]
	v_mul_f32_e32 v0, v6, v17
	v_mul_f32_e32 v44, v7, v17
	v_fma_f32 v0, v16, v7, -v0
	v_fmac_f32_e32 v44, v6, v16
	v_cvt_f64_f32_e32 v[6:7], v0
	ds_read2_b64 v[0:3], v42 offset0:90 offset1:108
	v_cvt_f32_f64_e32 v8, v[14:15]
	v_cvt_f32_f64_e32 v9, v[32:33]
	v_cvt_f64_f32_e32 v[4:5], v44
	v_mov_b32_e32 v35, s3
	v_add_co_u32_e32 v10, vcc, s2, v38
	v_addc_co_u32_e32 v11, vcc, v39, v35, vcc
	global_store_dwordx2 v[10:11], v[8:9], off
	s_waitcnt lgkmcnt(0)
	v_mul_f32_e32 v8, v1, v23
	v_mul_f64 v[4:5], v[4:5], s[0:1]
	v_mul_f64 v[6:7], v[6:7], s[0:1]
	v_fmac_f32_e32 v8, v0, v22
	v_mul_f32_e32 v0, v0, v23
	v_fma_f32 v0, v22, v1, -v0
	v_cvt_f64_f32_e32 v[0:1], v0
	v_cvt_f64_f32_e32 v[8:9], v8
	v_mov_b32_e32 v12, s3
	v_cvt_f32_f64_e32 v4, v[4:5]
	v_mul_f64 v[0:1], v[0:1], s[0:1]
	v_cvt_f32_f64_e32 v5, v[6:7]
	v_mul_f64 v[6:7], v[8:9], s[0:1]
	v_mov_b32_e32 v9, s3
	v_add_co_u32_e32 v8, vcc, s2, v10
	v_addc_co_u32_e32 v9, vcc, v11, v9, vcc
	global_store_dwordx2 v[8:9], v[4:5], off
	v_cvt_f32_f64_e32 v5, v[0:1]
	s_waitcnt vmcnt(8)
	v_mul_f32_e32 v0, v3, v25
	v_fmac_f32_e32 v0, v2, v24
	v_cvt_f32_f64_e32 v4, v[6:7]
	v_cvt_f64_f32_e32 v[6:7], v0
	v_mul_f32_e32 v0, v2, v25
	v_fma_f32 v0, v24, v3, -v0
	v_cvt_f64_f32_e32 v[10:11], v0
	ds_read2_b64 v[0:3], v42 offset0:126 offset1:144
	v_add_co_u32_e32 v8, vcc, s2, v8
	v_addc_co_u32_e32 v9, vcc, v9, v12, vcc
	global_store_dwordx2 v[8:9], v[4:5], off
	v_mul_f64 v[4:5], v[6:7], s[0:1]
	v_mul_f64 v[6:7], v[10:11], s[0:1]
	s_waitcnt vmcnt(8) lgkmcnt(0)
	v_mul_f32_e32 v10, v1, v27
	v_fmac_f32_e32 v10, v0, v26
	v_mul_f32_e32 v0, v0, v27
	v_fma_f32 v0, v26, v1, -v0
	v_cvt_f64_f32_e32 v[0:1], v0
	v_cvt_f64_f32_e32 v[10:11], v10
	v_cvt_f32_f64_e32 v4, v[4:5]
	v_cvt_f32_f64_e32 v5, v[6:7]
	v_mul_f64 v[0:1], v[0:1], s[0:1]
	v_mul_f64 v[6:7], v[10:11], s[0:1]
	v_mov_b32_e32 v10, s3
	v_add_co_u32_e32 v8, vcc, s2, v8
	v_addc_co_u32_e32 v9, vcc, v9, v10, vcc
	global_store_dwordx2 v[8:9], v[4:5], off
	v_cvt_f32_f64_e32 v5, v[0:1]
	s_waitcnt vmcnt(8)
	v_mul_f32_e32 v0, v3, v29
	v_fmac_f32_e32 v0, v2, v28
	v_mul_f32_e32 v2, v2, v29
	v_fma_f32 v2, v28, v3, -v2
	v_cvt_f64_f32_e32 v[0:1], v0
	v_cvt_f64_f32_e32 v[2:3], v2
	v_cvt_f32_f64_e32 v4, v[6:7]
	v_mov_b32_e32 v7, s3
	v_add_co_u32_e32 v6, vcc, s2, v8
	v_mul_f64 v[0:1], v[0:1], s[0:1]
	v_mul_f64 v[2:3], v[2:3], s[0:1]
	v_addc_co_u32_e32 v7, vcc, v9, v7, vcc
	global_store_dwordx2 v[6:7], v[4:5], off
	s_waitcnt vmcnt(8)
	v_mul_f32_e32 v4, v37, v31
	v_mul_f32_e32 v8, v36, v31
	v_fmac_f32_e32 v4, v36, v30
	v_fma_f32 v8, v30, v37, -v8
	v_cvt_f64_f32_e32 v[4:5], v4
	v_cvt_f64_f32_e32 v[8:9], v8
	v_cvt_f32_f64_e32 v0, v[0:1]
	v_cvt_f32_f64_e32 v1, v[2:3]
	v_mul_f64 v[2:3], v[4:5], s[0:1]
	v_mul_f64 v[4:5], v[8:9], s[0:1]
	v_mov_b32_e32 v8, s3
	v_add_co_u32_e32 v6, vcc, s2, v6
	v_addc_co_u32_e32 v7, vcc, v7, v8, vcc
	global_store_dwordx2 v[6:7], v[0:1], off
	v_cvt_f32_f64_e32 v0, v[2:3]
	v_cvt_f32_f64_e32 v1, v[4:5]
	v_mov_b32_e32 v3, s3
	v_add_co_u32_e32 v2, vcc, s2, v6
	v_addc_co_u32_e32 v3, vcc, v7, v3, vcc
	global_store_dwordx2 v[2:3], v[0:1], off
.LBB0_23:
	s_endpgm
	.section	.rodata,"a",@progbits
	.p2align	6, 0x0
	.amdhsa_kernel bluestein_single_back_len180_dim1_sp_op_CI_CI
		.amdhsa_group_segment_fixed_size 5760
		.amdhsa_private_segment_fixed_size 0
		.amdhsa_kernarg_size 104
		.amdhsa_user_sgpr_count 6
		.amdhsa_user_sgpr_private_segment_buffer 1
		.amdhsa_user_sgpr_dispatch_ptr 0
		.amdhsa_user_sgpr_queue_ptr 0
		.amdhsa_user_sgpr_kernarg_segment_ptr 1
		.amdhsa_user_sgpr_dispatch_id 0
		.amdhsa_user_sgpr_flat_scratch_init 0
		.amdhsa_user_sgpr_private_segment_size 0
		.amdhsa_uses_dynamic_stack 0
		.amdhsa_system_sgpr_private_segment_wavefront_offset 0
		.amdhsa_system_sgpr_workgroup_id_x 1
		.amdhsa_system_sgpr_workgroup_id_y 0
		.amdhsa_system_sgpr_workgroup_id_z 0
		.amdhsa_system_sgpr_workgroup_info 0
		.amdhsa_system_vgpr_workitem_id 0
		.amdhsa_next_free_vgpr 58
		.amdhsa_next_free_sgpr 16
		.amdhsa_reserve_vcc 1
		.amdhsa_reserve_flat_scratch 0
		.amdhsa_float_round_mode_32 0
		.amdhsa_float_round_mode_16_64 0
		.amdhsa_float_denorm_mode_32 3
		.amdhsa_float_denorm_mode_16_64 3
		.amdhsa_dx10_clamp 1
		.amdhsa_ieee_mode 1
		.amdhsa_fp16_overflow 0
		.amdhsa_exception_fp_ieee_invalid_op 0
		.amdhsa_exception_fp_denorm_src 0
		.amdhsa_exception_fp_ieee_div_zero 0
		.amdhsa_exception_fp_ieee_overflow 0
		.amdhsa_exception_fp_ieee_underflow 0
		.amdhsa_exception_fp_ieee_inexact 0
		.amdhsa_exception_int_div_zero 0
	.end_amdhsa_kernel
	.text
.Lfunc_end0:
	.size	bluestein_single_back_len180_dim1_sp_op_CI_CI, .Lfunc_end0-bluestein_single_back_len180_dim1_sp_op_CI_CI
                                        ; -- End function
	.section	.AMDGPU.csdata,"",@progbits
; Kernel info:
; codeLenInByte = 5876
; NumSgprs: 20
; NumVgprs: 58
; ScratchSize: 0
; MemoryBound: 0
; FloatMode: 240
; IeeeMode: 1
; LDSByteSize: 5760 bytes/workgroup (compile time only)
; SGPRBlocks: 2
; VGPRBlocks: 14
; NumSGPRsForWavesPerEU: 20
; NumVGPRsForWavesPerEU: 58
; Occupancy: 4
; WaveLimiterHint : 1
; COMPUTE_PGM_RSRC2:SCRATCH_EN: 0
; COMPUTE_PGM_RSRC2:USER_SGPR: 6
; COMPUTE_PGM_RSRC2:TRAP_HANDLER: 0
; COMPUTE_PGM_RSRC2:TGID_X_EN: 1
; COMPUTE_PGM_RSRC2:TGID_Y_EN: 0
; COMPUTE_PGM_RSRC2:TGID_Z_EN: 0
; COMPUTE_PGM_RSRC2:TIDIG_COMP_CNT: 0
	.type	__hip_cuid_ea3666069194874b,@object ; @__hip_cuid_ea3666069194874b
	.section	.bss,"aw",@nobits
	.globl	__hip_cuid_ea3666069194874b
__hip_cuid_ea3666069194874b:
	.byte	0                               ; 0x0
	.size	__hip_cuid_ea3666069194874b, 1

	.ident	"AMD clang version 19.0.0git (https://github.com/RadeonOpenCompute/llvm-project roc-6.4.0 25133 c7fe45cf4b819c5991fe208aaa96edf142730f1d)"
	.section	".note.GNU-stack","",@progbits
	.addrsig
	.addrsig_sym __hip_cuid_ea3666069194874b
	.amdgpu_metadata
---
amdhsa.kernels:
  - .args:
      - .actual_access:  read_only
        .address_space:  global
        .offset:         0
        .size:           8
        .value_kind:     global_buffer
      - .actual_access:  read_only
        .address_space:  global
        .offset:         8
        .size:           8
        .value_kind:     global_buffer
      - .actual_access:  read_only
        .address_space:  global
        .offset:         16
        .size:           8
        .value_kind:     global_buffer
      - .actual_access:  read_only
        .address_space:  global
        .offset:         24
        .size:           8
        .value_kind:     global_buffer
      - .actual_access:  read_only
        .address_space:  global
        .offset:         32
        .size:           8
        .value_kind:     global_buffer
      - .offset:         40
        .size:           8
        .value_kind:     by_value
      - .address_space:  global
        .offset:         48
        .size:           8
        .value_kind:     global_buffer
      - .address_space:  global
        .offset:         56
        .size:           8
        .value_kind:     global_buffer
      - .address_space:  global
        .offset:         64
        .size:           8
        .value_kind:     global_buffer
      - .address_space:  global
        .offset:         72
        .size:           8
        .value_kind:     global_buffer
      - .offset:         80
        .size:           4
        .value_kind:     by_value
      - .address_space:  global
        .offset:         88
        .size:           8
        .value_kind:     global_buffer
      - .address_space:  global
        .offset:         96
        .size:           8
        .value_kind:     global_buffer
    .group_segment_fixed_size: 5760
    .kernarg_segment_align: 8
    .kernarg_segment_size: 104
    .language:       OpenCL C
    .language_version:
      - 2
      - 0
    .max_flat_workgroup_size: 240
    .name:           bluestein_single_back_len180_dim1_sp_op_CI_CI
    .private_segment_fixed_size: 0
    .sgpr_count:     20
    .sgpr_spill_count: 0
    .symbol:         bluestein_single_back_len180_dim1_sp_op_CI_CI.kd
    .uniform_work_group_size: 1
    .uses_dynamic_stack: false
    .vgpr_count:     58
    .vgpr_spill_count: 0
    .wavefront_size: 64
amdhsa.target:   amdgcn-amd-amdhsa--gfx906
amdhsa.version:
  - 1
  - 2
...

	.end_amdgpu_metadata
